;; amdgpu-corpus repo=ROCm/rocFFT kind=compiled arch=gfx906 opt=O3
	.text
	.amdgcn_target "amdgcn-amd-amdhsa--gfx906"
	.amdhsa_code_object_version 6
	.protected	fft_rtc_back_len112_factors_4_7_4_wgs_448_tpt_28_sp_op_CI_CI_sbcc_twdbase8_2step_dirReg_intrinsicReadWrite ; -- Begin function fft_rtc_back_len112_factors_4_7_4_wgs_448_tpt_28_sp_op_CI_CI_sbcc_twdbase8_2step_dirReg_intrinsicReadWrite
	.globl	fft_rtc_back_len112_factors_4_7_4_wgs_448_tpt_28_sp_op_CI_CI_sbcc_twdbase8_2step_dirReg_intrinsicReadWrite
	.p2align	8
	.type	fft_rtc_back_len112_factors_4_7_4_wgs_448_tpt_28_sp_op_CI_CI_sbcc_twdbase8_2step_dirReg_intrinsicReadWrite,@function
fft_rtc_back_len112_factors_4_7_4_wgs_448_tpt_28_sp_op_CI_CI_sbcc_twdbase8_2step_dirReg_intrinsicReadWrite: ; @fft_rtc_back_len112_factors_4_7_4_wgs_448_tpt_28_sp_op_CI_CI_sbcc_twdbase8_2step_dirReg_intrinsicReadWrite
; %bb.0:
	s_load_dwordx4 s[0:3], s[4:5], 0x18
	s_load_dwordx2 s[30:31], s[4:5], 0x28
	s_mov_b32 s7, 0
	s_mov_b64 s[24:25], 0
	s_waitcnt lgkmcnt(0)
	s_load_dwordx2 s[28:29], s[0:1], 0x8
	s_waitcnt lgkmcnt(0)
	s_add_u32 s8, s28, -1
	s_addc_u32 s9, s29, -1
	s_lshr_b64 s[8:9], s[8:9], 4
	s_add_u32 s34, s8, 1
	s_addc_u32 s35, s9, 0
	v_mov_b32_e32 v1, s34
	v_mov_b32_e32 v2, s35
	v_cmp_lt_u64_e32 vcc, s[6:7], v[1:2]
	s_cbranch_vccnz .LBB0_2
; %bb.1:
	v_cvt_f32_u32_e32 v1, s34
	s_sub_i32 s8, 0, s34
	s_mov_b32 s25, s7
	v_rcp_iflag_f32_e32 v1, v1
	v_mul_f32_e32 v1, 0x4f7ffffe, v1
	v_cvt_u32_f32_e32 v1, v1
	v_readfirstlane_b32 s9, v1
	s_mul_i32 s8, s8, s9
	s_mul_hi_u32 s8, s9, s8
	s_add_i32 s9, s9, s8
	s_mul_hi_u32 s8, s6, s9
	s_mul_i32 s10, s8, s34
	s_sub_i32 s10, s6, s10
	s_add_i32 s9, s8, 1
	s_sub_i32 s11, s10, s34
	s_cmp_ge_u32 s10, s34
	s_cselect_b32 s8, s9, s8
	s_cselect_b32 s10, s11, s10
	s_add_i32 s9, s8, 1
	s_cmp_ge_u32 s10, s34
	s_cselect_b32 s24, s9, s8
.LBB0_2:
	s_load_dwordx4 s[12:15], s[4:5], 0x60
	s_load_dwordx4 s[20:23], s[2:3], 0x0
	s_load_dwordx4 s[8:11], s[30:31], 0x0
	s_waitcnt lgkmcnt(0)
	s_mul_i32 s9, s24, s35
	s_mul_hi_u32 s16, s24, s34
	s_add_i32 s16, s16, s9
	s_mul_i32 s9, s24, s34
	s_sub_u32 s36, s6, s9
	s_subb_u32 s37, 0, s16
	v_mov_b32_e32 v1, s36
	v_alignbit_b32 v1, s37, v1, 28
	v_mul_lo_u32 v2, s22, v1
	s_load_dwordx2 s[26:27], s[4:5], 0x0
	s_load_dwordx4 s[16:19], s[4:5], 0x8
	s_lshl_b64 s[4:5], s[36:37], 4
	s_mul_hi_u32 s9, s22, s4
	v_mul_lo_u32 v1, s10, v1
	v_add_u32_e32 v2, s9, v2
	s_mul_i32 s9, s23, s4
	v_add_u32_e32 v4, s9, v2
	s_mul_i32 s9, s22, s4
	v_mov_b32_e32 v3, s9
	s_mul_hi_u32 s9, s10, s4
	v_add_u32_e32 v1, s9, v1
	s_mul_i32 s9, s11, s4
	s_waitcnt lgkmcnt(0)
	v_cmp_lt_u64_e64 s[36:37], s[18:19], 3
	v_add_u32_e32 v5, s9, v1
	s_mul_i32 s9, s10, s4
	v_mov_b32_e32 v16, s9
	s_and_b64 vcc, exec, s[36:37]
	s_cbranch_vccnz .LBB0_11
; %bb.3:
	s_add_u32 s36, s30, 16
	s_addc_u32 s37, s31, 0
	s_add_u32 s38, s2, 16
	s_addc_u32 s39, s3, 0
	s_add_u32 s40, s0, 16
	v_mov_b32_e32 v1, s18
	s_addc_u32 s41, s1, 0
	s_mov_b64 s[42:43], 2
	s_mov_b32 s44, 0
	v_mov_b32_e32 v2, s19
	s_branch .LBB0_5
.LBB0_4:                                ;   in Loop: Header=BB0_5 Depth=1
	s_mul_i32 s9, s46, s35
	s_mul_hi_u32 s11, s46, s34
	s_add_i32 s9, s11, s9
	s_mul_i32 s11, s47, s34
	s_add_i32 s35, s9, s11
	s_mul_i32 s9, s0, s47
	s_mul_hi_u32 s11, s0, s46
	s_add_i32 s9, s11, s9
	s_mul_i32 s11, s1, s46
	s_load_dwordx2 s[48:49], s[38:39], 0x0
	s_add_i32 s9, s9, s11
	s_mul_i32 s11, s0, s46
	s_sub_u32 s11, s24, s11
	s_subb_u32 s9, s25, s9
	s_load_dwordx2 s[24:25], s[36:37], 0x0
	s_waitcnt lgkmcnt(0)
	s_mul_i32 s21, s48, s9
	s_mul_hi_u32 s23, s48, s11
	s_add_i32 s21, s23, s21
	s_mul_i32 s23, s49, s11
	s_add_i32 s21, s21, s23
	v_mov_b32_e32 v6, s21
	s_mul_i32 s9, s24, s9
	s_mul_hi_u32 s21, s24, s11
	s_add_i32 s9, s21, s9
	s_mul_i32 s21, s25, s11
	s_add_i32 s9, s9, s21
	s_mul_i32 s23, s48, s11
	s_add_u32 s42, s42, 1
	v_add_co_u32_e32 v3, vcc, s23, v3
	s_addc_u32 s43, s43, 0
	v_addc_co_u32_e32 v4, vcc, v6, v4, vcc
	s_mul_i32 s11, s24, s11
	s_add_u32 s36, s36, 8
	v_mov_b32_e32 v6, s9
	v_add_co_u32_e32 v16, vcc, s11, v16
	s_addc_u32 s37, s37, 0
	v_addc_co_u32_e32 v5, vcc, v6, v5, vcc
	s_add_u32 s38, s38, 8
	s_addc_u32 s39, s39, 0
	v_cmp_ge_u64_e32 vcc, s[42:43], v[1:2]
	s_add_u32 s40, s40, 8
	s_mul_i32 s34, s46, s34
	s_addc_u32 s41, s41, 0
	s_mov_b64 s[24:25], s[0:1]
	s_cbranch_vccnz .LBB0_9
.LBB0_5:                                ; =>This Inner Loop Header: Depth=1
	s_load_dwordx2 s[46:47], s[40:41], 0x0
	s_waitcnt lgkmcnt(0)
	s_or_b64 s[0:1], s[24:25], s[46:47]
	s_mov_b32 s45, s1
	s_cmp_lg_u64 s[44:45], 0
	s_cbranch_scc0 .LBB0_7
; %bb.6:                                ;   in Loop: Header=BB0_5 Depth=1
	v_cvt_f32_u32_e32 v6, s46
	v_cvt_f32_u32_e32 v7, s47
	s_sub_u32 s0, 0, s46
	s_subb_u32 s1, 0, s47
	v_mac_f32_e32 v6, 0x4f800000, v7
	v_rcp_f32_e32 v6, v6
	v_mul_f32_e32 v6, 0x5f7ffffc, v6
	v_mul_f32_e32 v7, 0x2f800000, v6
	v_trunc_f32_e32 v7, v7
	v_mac_f32_e32 v6, 0xcf800000, v7
	v_cvt_u32_f32_e32 v7, v7
	v_cvt_u32_f32_e32 v6, v6
	v_readfirstlane_b32 s9, v7
	v_readfirstlane_b32 s11, v6
	s_mul_i32 s21, s0, s9
	s_mul_hi_u32 s33, s0, s11
	s_mul_i32 s23, s1, s11
	s_add_i32 s21, s33, s21
	s_mul_i32 s45, s0, s11
	s_add_i32 s21, s21, s23
	s_mul_hi_u32 s23, s11, s21
	s_mul_i32 s33, s11, s21
	s_mul_hi_u32 s11, s11, s45
	s_add_u32 s11, s11, s33
	s_addc_u32 s23, 0, s23
	s_mul_hi_u32 s48, s9, s45
	s_mul_i32 s45, s9, s45
	s_add_u32 s11, s11, s45
	s_mul_hi_u32 s33, s9, s21
	s_addc_u32 s11, s23, s48
	s_addc_u32 s23, s33, 0
	s_mul_i32 s21, s9, s21
	s_add_u32 s11, s11, s21
	s_addc_u32 s21, 0, s23
	v_add_co_u32_e32 v6, vcc, s11, v6
	s_cmp_lg_u64 vcc, 0
	s_addc_u32 s9, s9, s21
	v_readfirstlane_b32 s21, v6
	s_mul_i32 s11, s0, s9
	s_mul_hi_u32 s23, s0, s21
	s_add_i32 s11, s23, s11
	s_mul_i32 s1, s1, s21
	s_add_i32 s11, s11, s1
	s_mul_i32 s0, s0, s21
	s_mul_hi_u32 s23, s9, s0
	s_mul_i32 s33, s9, s0
	s_mul_i32 s48, s21, s11
	s_mul_hi_u32 s0, s21, s0
	s_mul_hi_u32 s45, s21, s11
	s_add_u32 s0, s0, s48
	s_addc_u32 s21, 0, s45
	s_add_u32 s0, s0, s33
	s_mul_hi_u32 s1, s9, s11
	s_addc_u32 s0, s21, s23
	s_addc_u32 s1, s1, 0
	s_mul_i32 s11, s9, s11
	s_add_u32 s0, s0, s11
	s_addc_u32 s1, 0, s1
	v_add_co_u32_e32 v6, vcc, s0, v6
	s_cmp_lg_u64 vcc, 0
	s_addc_u32 s0, s9, s1
	v_readfirstlane_b32 s11, v6
	s_mul_i32 s9, s24, s0
	s_mul_hi_u32 s21, s24, s11
	s_mul_hi_u32 s1, s24, s0
	s_add_u32 s9, s21, s9
	s_addc_u32 s1, 0, s1
	s_mul_hi_u32 s23, s25, s11
	s_mul_i32 s11, s25, s11
	s_add_u32 s9, s9, s11
	s_mul_hi_u32 s21, s25, s0
	s_addc_u32 s1, s1, s23
	s_addc_u32 s9, s21, 0
	s_mul_i32 s0, s25, s0
	s_add_u32 s11, s1, s0
	s_addc_u32 s9, 0, s9
	s_mul_i32 s0, s46, s9
	s_mul_hi_u32 s1, s46, s11
	s_add_i32 s0, s1, s0
	s_mul_i32 s1, s47, s11
	s_add_i32 s21, s0, s1
	s_mul_i32 s1, s46, s11
	v_mov_b32_e32 v6, s1
	s_sub_i32 s0, s25, s21
	v_sub_co_u32_e32 v6, vcc, s24, v6
	s_cmp_lg_u64 vcc, 0
	s_subb_u32 s23, s0, s47
	v_subrev_co_u32_e64 v7, s[0:1], s46, v6
	s_cmp_lg_u64 s[0:1], 0
	s_subb_u32 s0, s23, 0
	s_cmp_ge_u32 s0, s47
	v_readfirstlane_b32 s23, v7
	s_cselect_b32 s1, -1, 0
	s_cmp_ge_u32 s23, s46
	s_cselect_b32 s23, -1, 0
	s_cmp_eq_u32 s0, s47
	s_cselect_b32 s0, s23, s1
	s_add_u32 s1, s11, 1
	s_addc_u32 s23, s9, 0
	s_add_u32 s33, s11, 2
	s_addc_u32 s45, s9, 0
	s_cmp_lg_u32 s0, 0
	s_cselect_b32 s0, s33, s1
	s_cselect_b32 s1, s45, s23
	s_cmp_lg_u64 vcc, 0
	s_subb_u32 s21, s25, s21
	s_cmp_ge_u32 s21, s47
	v_readfirstlane_b32 s33, v6
	s_cselect_b32 s23, -1, 0
	s_cmp_ge_u32 s33, s46
	s_cselect_b32 s33, -1, 0
	s_cmp_eq_u32 s21, s47
	s_cselect_b32 s21, s33, s23
	s_cmp_lg_u32 s21, 0
	s_cselect_b32 s1, s1, s9
	s_cselect_b32 s0, s0, s11
	s_cbranch_execnz .LBB0_4
	s_branch .LBB0_8
.LBB0_7:                                ;   in Loop: Header=BB0_5 Depth=1
                                        ; implicit-def: $sgpr0_sgpr1
.LBB0_8:                                ;   in Loop: Header=BB0_5 Depth=1
	v_cvt_f32_u32_e32 v6, s46
	s_sub_i32 s0, 0, s46
	v_rcp_iflag_f32_e32 v6, v6
	v_mul_f32_e32 v6, 0x4f7ffffe, v6
	v_cvt_u32_f32_e32 v6, v6
	v_readfirstlane_b32 s1, v6
	s_mul_i32 s0, s0, s1
	s_mul_hi_u32 s0, s1, s0
	s_add_i32 s1, s1, s0
	s_mul_hi_u32 s0, s24, s1
	s_mul_i32 s9, s0, s46
	s_sub_i32 s9, s24, s9
	s_add_i32 s1, s0, 1
	s_sub_i32 s11, s9, s46
	s_cmp_ge_u32 s9, s46
	s_cselect_b32 s0, s1, s0
	s_cselect_b32 s9, s11, s9
	s_add_i32 s1, s0, 1
	s_cmp_ge_u32 s9, s46
	s_cselect_b32 s0, s1, s0
	s_mov_b32 s1, s44
	s_branch .LBB0_4
.LBB0_9:
	v_mov_b32_e32 v1, s34
	v_mov_b32_e32 v2, s35
	v_cmp_lt_u64_e32 vcc, s[6:7], v[1:2]
	s_mov_b64 s[24:25], 0
	s_cbranch_vccnz .LBB0_11
; %bb.10:
	v_cvt_f32_u32_e32 v1, s34
	s_sub_i32 s0, 0, s34
	v_rcp_iflag_f32_e32 v1, v1
	v_mul_f32_e32 v1, 0x4f7ffffe, v1
	v_cvt_u32_f32_e32 v1, v1
	v_readfirstlane_b32 s1, v1
	s_mul_i32 s0, s0, s1
	s_mul_hi_u32 s0, s1, s0
	s_add_i32 s1, s1, s0
	s_mul_hi_u32 s0, s6, s1
	s_mul_i32 s7, s0, s34
	s_sub_i32 s6, s6, s7
	s_add_i32 s1, s0, 1
	s_sub_i32 s7, s6, s34
	s_cmp_ge_u32 s6, s34
	s_cselect_b32 s0, s1, s0
	s_cselect_b32 s6, s7, s6
	s_add_i32 s1, s0, 1
	s_cmp_ge_u32 s6, s34
	s_cselect_b32 s24, s1, s0
.LBB0_11:
	s_lshl_b64 s[0:1], s[18:19], 3
	s_add_u32 s2, s2, s0
	s_addc_u32 s3, s3, s1
	s_load_dword s6, s[2:3], 0x0
	s_add_u32 s2, s30, s0
	v_and_b32_e32 v17, 15, v0
	s_addc_u32 s3, s31, s1
	v_lshrrev_b32_e32 v18, 4, v0
	s_add_u32 s0, s4, 16
	v_mul_lo_u32 v4, s22, v17
	v_mul_lo_u32 v5, s20, v18
	v_mov_b32_e32 v1, s28
	v_or_b32_e32 v13, s4, v17
	v_mov_b32_e32 v14, s5
	s_addc_u32 s1, s5, 0
	v_mov_b32_e32 v2, s29
	v_cmp_le_u64_e32 vcc, s[0:1], v[1:2]
	v_cmp_gt_u64_e64 s[0:1], s[28:29], v[13:14]
	s_waitcnt lgkmcnt(0)
	s_mul_i32 s6, s6, s24
	v_add_u32_e32 v3, s6, v3
	v_add_lshl_u32 v1, v4, v5, 3
	s_or_b64 vcc, vcc, s[0:1]
	v_lshlrev_b32_e32 v2, 3, v3
	v_cndmask_b32_e32 v7, -1, v1, vcc
	v_add_u32_e32 v1, 28, v18
	v_mul_lo_u32 v1, s20, v1
	v_readfirstlane_b32 s0, v2
	v_add_u32_e32 v2, 56, v18
	v_add_u32_e32 v3, 0x54, v18
	v_mul_lo_u32 v2, s20, v2
	v_mul_lo_u32 v3, s20, v3
	v_add_lshl_u32 v1, v4, v1, 3
	s_mov_b32 s7, 0x20000
	s_mov_b32 s6, -2
	s_mov_b32 s4, s12
	s_mov_b32 s5, s13
	v_cndmask_b32_e32 v8, -1, v1, vcc
	v_add_lshl_u32 v1, v4, v2, 3
	v_add_lshl_u32 v10, v4, v3, 3
	v_cndmask_b32_e32 v9, -1, v1, vcc
	buffer_load_dwordx2 v[1:2], v7, s[4:7], s0 offen
	buffer_load_dwordx2 v[3:4], v8, s[4:7], s0 offen
	;; [unrolled: 1-line block ×3, first 2 shown]
	v_cndmask_b32_e32 v7, -1, v10, vcc
	buffer_load_dwordx2 v[7:8], v7, s[4:7], s0 offen
	s_load_dwordx2 s[2:3], s[2:3], 0x0
	s_movk_i32 s0, 0x100
	v_lshlrev_b32_e32 v9, 9, v18
	v_lshlrev_b32_e32 v19, 3, v17
	v_add3_u32 v9, 0, v9, v19
	v_cmp_gt_u32_e64 s[0:1], s0, v0
                                        ; implicit-def: $vgpr15
                                        ; implicit-def: $vgpr12
	s_waitcnt vmcnt(1)
	v_sub_f32_e32 v10, v1, v5
	v_sub_f32_e32 v11, v2, v6
	s_waitcnt vmcnt(0)
	v_sub_f32_e32 v5, v3, v7
	v_sub_f32_e32 v6, v4, v8
	v_fma_f32 v1, v1, 2.0, -v10
	v_fma_f32 v2, v2, 2.0, -v11
	;; [unrolled: 1-line block ×4, first 2 shown]
	v_add_f32_e32 v7, v10, v6
	v_sub_f32_e32 v8, v11, v5
	v_sub_f32_e32 v5, v1, v3
	;; [unrolled: 1-line block ×3, first 2 shown]
	v_fma_f32 v3, v10, 2.0, -v7
	v_fma_f32 v4, v11, 2.0, -v8
	;; [unrolled: 1-line block ×4, first 2 shown]
	ds_write2_b64 v9, v[5:6], v[7:8] offset0:32 offset1:48
	ds_write2_b64 v9, v[1:2], v[3:4] offset1:16
	s_waitcnt lgkmcnt(0)
	s_barrier
	s_and_saveexec_b64 s[4:5], s[0:1]
	s_cbranch_execz .LBB0_13
; %bb.12:
	v_and_b32_e32 v1, 0xf0, v0
	v_lshlrev_b32_e32 v1, 3, v1
	v_add3_u32 v14, 0, v1, v19
	ds_read2st64_b64 v[1:4], v14 offset1:4
	ds_read2st64_b64 v[5:8], v14 offset0:8 offset1:12
	ds_read2st64_b64 v[9:12], v14 offset0:16 offset1:20
	ds_read_b64 v[14:15], v14 offset:12288
.LBB0_13:
	s_or_b64 exec, exec, s[4:5]
	s_waitcnt lgkmcnt(0)
	s_barrier
	s_and_saveexec_b64 s[4:5], s[0:1]
	s_cbranch_execz .LBB0_15
; %bb.14:
	v_bfe_u32 v20, v0, 4, 2
	v_mul_u32_u24_e32 v21, 6, v20
	v_lshlrev_b32_e32 v29, 3, v21
	global_load_dwordx4 v[21:24], v29, s[26:27] offset:32
	global_load_dwordx4 v[25:28], v29, s[26:27] offset:16
	s_mov_b32 s3, 0x3eae86e6
	s_mov_b32 s1, 0xbf3bfb3b
	;; [unrolled: 1-line block ×3, first 2 shown]
	s_waitcnt vmcnt(1)
	v_mul_f32_e32 v30, v15, v24
	v_mul_f32_e32 v24, v14, v24
	v_fmac_f32_e32 v30, v14, v23
	v_fma_f32 v14, v15, v23, -v24
	v_mul_f32_e32 v15, v12, v22
	v_mul_f32_e32 v22, v11, v22
	v_fmac_f32_e32 v15, v11, v21
	v_fma_f32 v11, v12, v21, -v22
	global_load_dwordx4 v[21:24], v29, s[26:27]
	s_waitcnt vmcnt(1)
	v_mul_f32_e32 v12, v10, v28
	v_fmac_f32_e32 v12, v9, v27
	v_mul_f32_e32 v9, v9, v28
	v_fma_f32 v9, v10, v27, -v9
	v_mul_f32_e32 v10, v8, v26
	v_mul_f32_e32 v26, v7, v26
	v_fmac_f32_e32 v10, v7, v25
	v_fma_f32 v7, v8, v25, -v26
	s_waitcnt vmcnt(0)
	v_mul_f32_e32 v27, v6, v24
	v_mul_f32_e32 v8, v5, v24
	;; [unrolled: 1-line block ×4, first 2 shown]
	v_fmac_f32_e32 v27, v5, v23
	v_fma_f32 v5, v6, v23, -v8
	v_fmac_f32_e32 v24, v3, v21
	v_fma_f32 v3, v4, v21, -v22
	v_sub_f32_e32 v4, v24, v30
	v_sub_f32_e32 v6, v12, v10
	;; [unrolled: 1-line block ×3, first 2 shown]
	v_add_f32_e32 v21, v3, v14
	v_add_f32_e32 v23, v24, v30
	;; [unrolled: 1-line block ×6, first 2 shown]
	v_sub_f32_e32 v3, v3, v14
	v_sub_f32_e32 v7, v9, v7
	;; [unrolled: 1-line block ×3, first 2 shown]
	v_add_f32_e32 v11, v24, v21
	v_add_f32_e32 v14, v12, v23
	v_sub_f32_e32 v15, v6, v8
	v_sub_f32_e32 v9, v4, v6
	v_add_f32_e32 v6, v6, v8
	v_sub_f32_e32 v25, v21, v22
	v_sub_f32_e32 v26, v22, v24
	;; [unrolled: 1-line block ×7, first 2 shown]
	v_add_f32_e32 v7, v7, v5
	v_sub_f32_e32 v8, v8, v4
	v_add_f32_e32 v11, v22, v11
	v_add_f32_e32 v10, v10, v14
	v_mul_f32_e32 v14, 0x3f08b237, v15
	v_sub_f32_e32 v5, v5, v3
	v_add_f32_e32 v6, v6, v4
	v_mul_f32_e32 v4, 0x3f4a47b2, v25
	v_add_f32_e32 v7, v7, v3
	v_mul_f32_e32 v3, 0xbf5ff5aa, v8
	v_add_f32_e32 v2, v2, v11
	v_mov_b32_e32 v25, v14
	v_sub_f32_e32 v12, v12, v23
	v_mul_f32_e32 v15, 0x3d64c772, v26
	v_mul_f32_e32 v22, 0x3f4a47b2, v27
	;; [unrolled: 1-line block ×3, first 2 shown]
	v_fma_f32 v27, v9, s3, -v3
	v_fmac_f32_e32 v25, 0xbeae86e6, v9
	v_mov_b32_e32 v9, v2
	v_mul_f32_e32 v24, 0xbf5ff5aa, v5
	v_add_f32_e32 v1, v1, v10
	v_fma_f32 v3, v21, s0, -v15
	v_fma_f32 v15, v21, s1, -v4
	v_mov_b32_e32 v21, v23
	v_fmac_f32_e32 v4, 0x3d64c772, v26
	v_fmac_f32_e32 v9, 0xbf955555, v11
	v_fma_f32 v24, v29, s3, -v24
	v_fmac_f32_e32 v21, 0xbeae86e6, v29
	v_mov_b32_e32 v26, v1
	v_add_f32_e32 v29, v4, v9
	v_add_f32_e32 v11, v15, v9
	;; [unrolled: 1-line block ×3, first 2 shown]
	v_mov_b32_e32 v3, v22
	v_fmac_f32_e32 v26, 0xbf955555, v10
	s_mov_b32 s3, 0xbf5ff5aa
	v_fmac_f32_e32 v3, 0x3d64c772, v28
	v_fma_f32 v10, v8, s3, -v14
	v_add_f32_e32 v14, v3, v26
	v_fmac_f32_e32 v21, 0xbee1c552, v7
	v_sub_f32_e32 v3, v14, v21
	v_add_f32_e32 v14, v21, v14
	v_lshrrev_b32_e32 v21, 6, v0
	v_mul_f32_e32 v8, 0x3d64c772, v28
	v_fma_f32 v15, v5, s3, -v23
	v_mul_u32_u24_e32 v21, 28, v21
	v_fmac_f32_e32 v24, 0xbee1c552, v7
	v_fmac_f32_e32 v15, 0xbee1c552, v7
	v_fma_f32 v7, v12, s0, -v8
	v_or_b32_e32 v20, v21, v20
	v_fmac_f32_e32 v25, 0xbee1c552, v6
	v_fmac_f32_e32 v10, 0xbee1c552, v6
	v_fma_f32 v5, v12, s1, -v22
	v_add_f32_e32 v12, v7, v26
	v_lshlrev_b32_e32 v20, 7, v20
	v_fmac_f32_e32 v27, 0xbee1c552, v6
	v_add_f32_e32 v22, v5, v26
	v_sub_f32_e32 v8, v9, v10
	v_add_f32_e32 v7, v15, v12
	v_add_f32_e32 v10, v10, v9
	v_sub_f32_e32 v9, v12, v15
	v_sub_f32_e32 v15, v29, v25
	v_add3_u32 v20, 0, v20, v19
	v_add_f32_e32 v4, v25, v29
	v_add_f32_e32 v6, v27, v11
	v_sub_f32_e32 v5, v22, v24
	v_sub_f32_e32 v12, v11, v27
	v_add_f32_e32 v11, v24, v22
	ds_write2st64_b64 v20, v[1:2], v[14:15] offset1:1
	ds_write2st64_b64 v20, v[11:12], v[9:10] offset0:2 offset1:3
	ds_write2st64_b64 v20, v[7:8], v[5:6] offset0:4 offset1:5
	ds_write_b64 v20, v[3:4] offset:3072
.LBB0_15:
	s_or_b64 exec, exec, s[4:5]
	v_lshrrev_b16_e32 v1, 2, v18
	v_and_b32_e32 v1, 63, v1
	v_mul_lo_u16_e32 v1, 37, v1
	v_mov_b32_e32 v2, 28
	v_mul_lo_u16_sdwa v1, v1, v2 dst_sel:DWORD dst_unused:UNUSED_PAD src0_sel:BYTE_1 src1_sel:DWORD
	v_sub_u16_e32 v1, v18, v1
	v_and_b32_e32 v24, 0xff, v1
	v_mul_u32_u24_e32 v1, 3, v24
	v_lshlrev_b32_e32 v5, 3, v1
	s_waitcnt lgkmcnt(0)
	s_barrier
	global_load_dwordx2 v[14:15], v5, s[26:27] offset:208
	global_load_dwordx4 v[1:4], v5, s[26:27] offset:192
	v_mul_lo_u32 v5, v13, v24
	v_mov_b32_e32 v25, 3
	s_mul_i32 s0, s2, s24
	v_lshrrev_b16_e32 v0, 6, v0
	v_lshlrev_b32_sdwa v6, v25, v5 dst_sel:DWORD dst_unused:UNUSED_PAD src0_sel:DWORD src1_sel:BYTE_0
	v_lshlrev_b32_sdwa v5, v25, v5 dst_sel:DWORD dst_unused:UNUSED_PAD src0_sel:DWORD src1_sel:BYTE_1
	global_load_dwordx2 v[20:21], v6, s[16:17]
	global_load_dwordx2 v[22:23], v5, s[16:17] offset:2048
	v_lshlrev_b32_e32 v5, 7, v18
	v_add3_u32 v9, 0, v5, v19
	ds_read2st64_b64 v[5:8], v9 offset0:14 offset1:21
	ds_read2st64_b64 v[9:12], v9 offset1:7
	v_add_u32_e32 v18, 28, v24
	v_mul_lo_u32 v18, v13, v18
	v_mul_u32_u24_e32 v0, 0x2493, v0
	s_mov_b32 s3, 0x20000
	s_mov_b32 s2, -2
	s_mov_b32 s1, s15
	s_waitcnt vmcnt(3) lgkmcnt(1)
	v_mul_f32_e32 v19, v15, v8
	v_mul_f32_e32 v15, v15, v7
	v_fmac_f32_e32 v19, v14, v7
	s_waitcnt vmcnt(2)
	v_mul_f32_e32 v7, v4, v6
	v_mul_f32_e32 v4, v4, v5
	v_fmac_f32_e32 v7, v3, v5
	v_fma_f32 v5, v3, v6, -v4
	v_add_u32_e32 v3, 56, v24
	v_mul_lo_u32 v3, v13, v3
	s_waitcnt lgkmcnt(0)
	v_sub_f32_e32 v26, v9, v7
	v_fma_f32 v28, v9, 2.0, -v26
	v_add_u32_e32 v9, 0x54, v24
	v_fma_f32 v14, v14, v8, -v15
	v_lshlrev_b32_sdwa v6, v25, v18 dst_sel:DWORD dst_unused:UNUSED_PAD src0_sel:DWORD src1_sel:BYTE_0
	v_mul_f32_e32 v15, v2, v12
	v_mul_f32_e32 v2, v2, v11
	v_mul_lo_u32 v9, v13, v9
	v_lshlrev_b32_sdwa v8, v25, v18 dst_sel:DWORD dst_unused:UNUSED_PAD src0_sel:DWORD src1_sel:BYTE_1
	v_fmac_f32_e32 v15, v1, v11
	v_fma_f32 v18, v1, v12, -v2
	v_lshlrev_b32_sdwa v11, v25, v3 dst_sel:DWORD dst_unused:UNUSED_PAD src0_sel:DWORD src1_sel:BYTE_0
	v_lshlrev_b32_sdwa v12, v25, v3 dst_sel:DWORD dst_unused:UNUSED_PAD src0_sel:DWORD src1_sel:BYTE_1
	global_load_dwordx2 v[1:2], v6, s[16:17]
	global_load_dwordx2 v[3:4], v8, s[16:17] offset:2048
	v_sub_f32_e32 v27, v10, v5
	global_load_dwordx2 v[5:6], v11, s[16:17]
	global_load_dwordx2 v[7:8], v12, s[16:17] offset:2048
	v_lshlrev_b32_sdwa v13, v25, v9 dst_sel:DWORD dst_unused:UNUSED_PAD src0_sel:DWORD src1_sel:BYTE_0
	v_lshlrev_b32_sdwa v25, v25, v9 dst_sel:DWORD dst_unused:UNUSED_PAD src0_sel:DWORD src1_sel:BYTE_1
	s_waitcnt vmcnt(4)
	v_mul_f32_e32 v9, v21, v23
	v_fma_f32 v29, v10, 2.0, -v27
	v_mul_f32_e32 v23, v20, v23
	v_fma_f32 v20, v20, v22, -v9
	global_load_dwordx2 v[9:10], v13, s[16:17]
	global_load_dwordx2 v[11:12], v25, s[16:17] offset:2048
	v_add_u32_e32 v13, s0, v16
	v_sub_f32_e32 v16, v15, v19
	v_fmac_f32_e32 v23, v21, v22
	v_sub_f32_e32 v14, v18, v14
	v_fma_f32 v15, v15, 2.0, -v16
	v_fma_f32 v18, v18, 2.0, -v14
	v_sub_f32_e32 v15, v28, v15
	v_add_f32_e32 v14, v26, v14
	v_sub_f32_e32 v18, v29, v18
	v_fma_f32 v19, v26, 2.0, -v14
	v_fma_f32 v25, v29, 2.0, -v18
	s_movk_i32 s0, 0x70
	v_mul_lo_u16_sdwa v0, v0, s0 dst_sel:DWORD dst_unused:UNUSED_PAD src0_sel:WORD_1 src1_sel:DWORD
	v_add_u32_e32 v0, v0, v24
	v_sub_f32_e32 v16, v27, v16
	s_mov_b32 s0, s14
	v_fma_f32 v21, v27, 2.0, -v16
	s_waitcnt vmcnt(4)
	v_mul_f32_e32 v22, v2, v4
	v_mul_f32_e32 v4, v1, v4
	v_fmac_f32_e32 v4, v2, v3
	s_waitcnt vmcnt(2)
	v_mul_f32_e32 v2, v5, v8
	v_fma_f32 v22, v1, v3, -v22
	v_mul_f32_e32 v1, v6, v8
	v_fma_f32 v8, v28, 2.0, -v15
	v_fmac_f32_e32 v2, v6, v7
	v_fma_f32 v26, v5, v7, -v1
	v_mul_f32_e32 v6, v8, v23
	v_mul_f32_e32 v7, v15, v2
	;; [unrolled: 1-line block ×4, first 2 shown]
	v_fma_f32 v2, v25, v20, -v6
	v_fma_f32 v6, v18, v26, -v7
	s_waitcnt vmcnt(0)
	v_mul_f32_e32 v7, v10, v12
	v_fmac_f32_e32 v1, v8, v20
	v_fma_f32 v8, v9, v11, -v7
	v_mul_f32_e32 v9, v9, v12
	v_fmac_f32_e32 v9, v10, v11
	v_mul_lo_u32 v10, s10, v17
	v_mul_lo_u32 v11, s8, v0
	v_mul_f32_e32 v7, v16, v9
	v_mul_f32_e32 v9, v14, v9
	v_fmac_f32_e32 v7, v14, v8
	v_fma_f32 v8, v16, v8, -v9
	v_add_lshl_u32 v9, v10, v11, 3
	v_lshlrev_b32_e32 v11, 3, v13
	v_add_u32_e32 v12, 28, v0
	v_cndmask_b32_e32 v9, -1, v9, vcc
	v_mul_lo_u32 v12, s8, v12
	v_readfirstlane_b32 s4, v11
	v_mul_f32_e32 v3, v21, v4
	v_mul_f32_e32 v4, v19, v4
	v_fmac_f32_e32 v3, v19, v22
	v_fma_f32 v4, v21, v22, -v4
	v_fmac_f32_e32 v5, v15, v26
	buffer_store_dwordx2 v[1:2], v9, s[0:3], s4 offen
	v_add_u32_e32 v2, 56, v0
	v_add_u32_e32 v0, 0x54, v0
	v_mul_lo_u32 v2, s8, v2
	v_mul_lo_u32 v0, s8, v0
	v_add_lshl_u32 v1, v10, v12, 3
	v_cndmask_b32_e32 v1, -1, v1, vcc
	buffer_store_dwordx2 v[3:4], v1, s[0:3], s4 offen
	v_add_lshl_u32 v1, v10, v2, 3
	v_add_lshl_u32 v0, v10, v0, 3
	v_cndmask_b32_e32 v1, -1, v1, vcc
	v_cndmask_b32_e32 v0, -1, v0, vcc
	buffer_store_dwordx2 v[5:6], v1, s[0:3], s4 offen
	buffer_store_dwordx2 v[7:8], v0, s[0:3], s4 offen
	s_endpgm
	.section	.rodata,"a",@progbits
	.p2align	6, 0x0
	.amdhsa_kernel fft_rtc_back_len112_factors_4_7_4_wgs_448_tpt_28_sp_op_CI_CI_sbcc_twdbase8_2step_dirReg_intrinsicReadWrite
		.amdhsa_group_segment_fixed_size 0
		.amdhsa_private_segment_fixed_size 0
		.amdhsa_kernarg_size 112
		.amdhsa_user_sgpr_count 6
		.amdhsa_user_sgpr_private_segment_buffer 1
		.amdhsa_user_sgpr_dispatch_ptr 0
		.amdhsa_user_sgpr_queue_ptr 0
		.amdhsa_user_sgpr_kernarg_segment_ptr 1
		.amdhsa_user_sgpr_dispatch_id 0
		.amdhsa_user_sgpr_flat_scratch_init 0
		.amdhsa_user_sgpr_private_segment_size 0
		.amdhsa_uses_dynamic_stack 0
		.amdhsa_system_sgpr_private_segment_wavefront_offset 0
		.amdhsa_system_sgpr_workgroup_id_x 1
		.amdhsa_system_sgpr_workgroup_id_y 0
		.amdhsa_system_sgpr_workgroup_id_z 0
		.amdhsa_system_sgpr_workgroup_info 0
		.amdhsa_system_vgpr_workitem_id 0
		.amdhsa_next_free_vgpr 31
		.amdhsa_next_free_sgpr 50
		.amdhsa_reserve_vcc 1
		.amdhsa_reserve_flat_scratch 0
		.amdhsa_float_round_mode_32 0
		.amdhsa_float_round_mode_16_64 0
		.amdhsa_float_denorm_mode_32 3
		.amdhsa_float_denorm_mode_16_64 3
		.amdhsa_dx10_clamp 1
		.amdhsa_ieee_mode 1
		.amdhsa_fp16_overflow 0
		.amdhsa_exception_fp_ieee_invalid_op 0
		.amdhsa_exception_fp_denorm_src 0
		.amdhsa_exception_fp_ieee_div_zero 0
		.amdhsa_exception_fp_ieee_overflow 0
		.amdhsa_exception_fp_ieee_underflow 0
		.amdhsa_exception_fp_ieee_inexact 0
		.amdhsa_exception_int_div_zero 0
	.end_amdhsa_kernel
	.text
.Lfunc_end0:
	.size	fft_rtc_back_len112_factors_4_7_4_wgs_448_tpt_28_sp_op_CI_CI_sbcc_twdbase8_2step_dirReg_intrinsicReadWrite, .Lfunc_end0-fft_rtc_back_len112_factors_4_7_4_wgs_448_tpt_28_sp_op_CI_CI_sbcc_twdbase8_2step_dirReg_intrinsicReadWrite
                                        ; -- End function
	.section	.AMDGPU.csdata,"",@progbits
; Kernel info:
; codeLenInByte = 3320
; NumSgprs: 54
; NumVgprs: 31
; ScratchSize: 0
; MemoryBound: 0
; FloatMode: 240
; IeeeMode: 1
; LDSByteSize: 0 bytes/workgroup (compile time only)
; SGPRBlocks: 6
; VGPRBlocks: 7
; NumSGPRsForWavesPerEU: 54
; NumVGPRsForWavesPerEU: 31
; Occupancy: 8
; WaveLimiterHint : 0
; COMPUTE_PGM_RSRC2:SCRATCH_EN: 0
; COMPUTE_PGM_RSRC2:USER_SGPR: 6
; COMPUTE_PGM_RSRC2:TRAP_HANDLER: 0
; COMPUTE_PGM_RSRC2:TGID_X_EN: 1
; COMPUTE_PGM_RSRC2:TGID_Y_EN: 0
; COMPUTE_PGM_RSRC2:TGID_Z_EN: 0
; COMPUTE_PGM_RSRC2:TIDIG_COMP_CNT: 0
	.type	__hip_cuid_41ea3e3e7b55f6aa,@object ; @__hip_cuid_41ea3e3e7b55f6aa
	.section	.bss,"aw",@nobits
	.globl	__hip_cuid_41ea3e3e7b55f6aa
__hip_cuid_41ea3e3e7b55f6aa:
	.byte	0                               ; 0x0
	.size	__hip_cuid_41ea3e3e7b55f6aa, 1

	.ident	"AMD clang version 19.0.0git (https://github.com/RadeonOpenCompute/llvm-project roc-6.4.0 25133 c7fe45cf4b819c5991fe208aaa96edf142730f1d)"
	.section	".note.GNU-stack","",@progbits
	.addrsig
	.addrsig_sym __hip_cuid_41ea3e3e7b55f6aa
	.amdgpu_metadata
---
amdhsa.kernels:
  - .args:
      - .actual_access:  read_only
        .address_space:  global
        .offset:         0
        .size:           8
        .value_kind:     global_buffer
      - .address_space:  global
        .offset:         8
        .size:           8
        .value_kind:     global_buffer
      - .offset:         16
        .size:           8
        .value_kind:     by_value
      - .actual_access:  read_only
        .address_space:  global
        .offset:         24
        .size:           8
        .value_kind:     global_buffer
      - .actual_access:  read_only
        .address_space:  global
        .offset:         32
        .size:           8
        .value_kind:     global_buffer
      - .actual_access:  read_only
        .address_space:  global
        .offset:         40
        .size:           8
        .value_kind:     global_buffer
      - .offset:         48
        .size:           8
        .value_kind:     by_value
      - .actual_access:  read_only
        .address_space:  global
        .offset:         56
        .size:           8
        .value_kind:     global_buffer
      - .actual_access:  read_only
        .address_space:  global
        .offset:         64
        .size:           8
        .value_kind:     global_buffer
      - .offset:         72
        .size:           4
        .value_kind:     by_value
      - .actual_access:  read_only
        .address_space:  global
        .offset:         80
        .size:           8
        .value_kind:     global_buffer
      - .actual_access:  read_only
        .address_space:  global
        .offset:         88
        .size:           8
        .value_kind:     global_buffer
      - .address_space:  global
        .offset:         96
        .size:           8
        .value_kind:     global_buffer
      - .address_space:  global
        .offset:         104
        .size:           8
        .value_kind:     global_buffer
    .group_segment_fixed_size: 0
    .kernarg_segment_align: 8
    .kernarg_segment_size: 112
    .language:       OpenCL C
    .language_version:
      - 2
      - 0
    .max_flat_workgroup_size: 448
    .name:           fft_rtc_back_len112_factors_4_7_4_wgs_448_tpt_28_sp_op_CI_CI_sbcc_twdbase8_2step_dirReg_intrinsicReadWrite
    .private_segment_fixed_size: 0
    .sgpr_count:     54
    .sgpr_spill_count: 0
    .symbol:         fft_rtc_back_len112_factors_4_7_4_wgs_448_tpt_28_sp_op_CI_CI_sbcc_twdbase8_2step_dirReg_intrinsicReadWrite.kd
    .uniform_work_group_size: 1
    .uses_dynamic_stack: false
    .vgpr_count:     31
    .vgpr_spill_count: 0
    .wavefront_size: 64
amdhsa.target:   amdgcn-amd-amdhsa--gfx906
amdhsa.version:
  - 1
  - 2
...

	.end_amdgpu_metadata
